;; amdgpu-corpus repo=ROCm/rocFFT kind=compiled arch=gfx906 opt=O3
	.text
	.amdgcn_target "amdgcn-amd-amdhsa--gfx906"
	.amdhsa_code_object_version 6
	.protected	bluestein_single_back_len189_dim1_sp_op_CI_CI ; -- Begin function bluestein_single_back_len189_dim1_sp_op_CI_CI
	.globl	bluestein_single_back_len189_dim1_sp_op_CI_CI
	.p2align	8
	.type	bluestein_single_back_len189_dim1_sp_op_CI_CI,@function
bluestein_single_back_len189_dim1_sp_op_CI_CI: ; @bluestein_single_back_len189_dim1_sp_op_CI_CI
; %bb.0:
	v_mul_u32_u24_e32 v1, 0xc31, v0
	s_load_dwordx4 s[8:11], s[4:5], 0x28
	v_lshrrev_b32_e32 v1, 16, v1
	v_mad_u64_u32 v[62:63], s[0:1], s6, 3, v[1:2]
	v_mov_b32_e32 v63, 0
	s_waitcnt lgkmcnt(0)
	v_cmp_gt_u64_e32 vcc, s[8:9], v[62:63]
	s_and_saveexec_b64 s[0:1], vcc
	s_cbranch_execz .LBB0_15
; %bb.1:
	s_load_dwordx4 s[0:3], s[4:5], 0x18
	v_mul_lo_u16_e32 v1, 21, v1
	v_sub_u16_e32 v81, v0, v1
	v_lshlrev_b32_e32 v44, 3, v81
	v_or_b32_e32 v80, 48, v81
	s_waitcnt lgkmcnt(0)
	s_load_dwordx4 s[12:15], s[0:1], 0x0
	s_waitcnt lgkmcnt(0)
	v_mad_u64_u32 v[4:5], s[0:1], s12, v81, 0
	v_mad_u64_u32 v[0:1], s[0:1], s14, v62, 0
	v_mov_b32_e32 v2, v5
	v_mad_u64_u32 v[5:6], s[0:1], s15, v62, v[1:2]
	v_mad_u64_u32 v[2:3], s[0:1], s13, v81, v[2:3]
	v_mov_b32_e32 v1, v5
	v_lshlrev_b64 v[0:1], 3, v[0:1]
	v_mov_b32_e32 v3, s11
	v_mov_b32_e32 v5, v2
	v_add_co_u32_e32 v2, vcc, s10, v0
	v_addc_co_u32_e32 v3, vcc, v3, v1, vcc
	v_lshlrev_b64 v[0:1], 3, v[4:5]
	s_mul_i32 s0, s13, 27
	s_mul_hi_u32 s1, s12, 27
	v_add_co_u32_e32 v0, vcc, v2, v0
	s_add_i32 s1, s1, s0
	s_mul_i32 s0, s12, 27
	s_load_dwordx2 s[14:15], s[4:5], 0x0
	v_addc_co_u32_e32 v1, vcc, v3, v1, vcc
	s_lshl_b64 s[16:17], s[0:1], 3
	v_mov_b32_e32 v16, s17
	v_add_co_u32_e32 v4, vcc, s16, v0
	v_addc_co_u32_e32 v5, vcc, v1, v16, vcc
	global_load_dwordx2 v[6:7], v[0:1], off
	global_load_dwordx2 v[8:9], v[4:5], off
	s_waitcnt lgkmcnt(0)
	global_load_dwordx2 v[73:74], v44, s[14:15]
	global_load_dwordx2 v[71:72], v44, s[14:15] offset:216
	v_add_co_u32_e32 v0, vcc, s16, v4
	v_addc_co_u32_e32 v1, vcc, v5, v16, vcc
	v_add_co_u32_e32 v4, vcc, s16, v0
	v_addc_co_u32_e32 v5, vcc, v1, v16, vcc
	global_load_dwordx2 v[10:11], v[0:1], off
	global_load_dwordx2 v[12:13], v[4:5], off
	global_load_dwordx2 v[69:70], v44, s[14:15] offset:432
	global_load_dwordx2 v[67:68], v44, s[14:15] offset:648
	v_add_co_u32_e32 v0, vcc, s16, v4
	v_addc_co_u32_e32 v1, vcc, v5, v16, vcc
	global_load_dwordx2 v[4:5], v[0:1], off
	global_load_dwordx2 v[65:66], v44, s[14:15] offset:864
	v_add_co_u32_e32 v0, vcc, s16, v0
	v_addc_co_u32_e32 v1, vcc, v1, v16, vcc
	global_load_dwordx2 v[14:15], v[0:1], off
	global_load_dwordx2 v[63:64], v44, s[14:15] offset:1080
	v_add_co_u32_e32 v0, vcc, s16, v0
	v_addc_co_u32_e32 v1, vcc, v1, v16, vcc
	global_load_dwordx2 v[60:61], v44, s[14:15] offset:1296
	global_load_dwordx2 v[16:17], v[0:1], off
	s_mov_b32 s0, 0xaaaaaaab
	v_mul_hi_u32 v18, v62, s0
	v_mov_b32_e32 v19, s15
	v_add_co_u32_e32 v58, vcc, s14, v44
	v_lshrrev_b32_e32 v18, 1, v18
	v_lshl_add_u32 v18, v18, 1, v18
	v_sub_u32_e32 v18, v62, v18
	v_mul_u32_u24_e32 v18, 0xbd, v18
	v_addc_co_u32_e32 v59, vcc, 0, v19, vcc
	v_lshlrev_b32_e32 v82, 3, v18
	s_load_dwordx2 s[6:7], s[4:5], 0x38
	s_load_dwordx4 s[8:11], s[2:3], 0x0
	v_add_u32_e32 v79, v44, v82
	v_cmp_gt_u16_e32 vcc, 6, v81
	s_waitcnt vmcnt(11)
	v_mul_f32_e32 v18, v7, v74
	v_mul_f32_e32 v19, v6, v74
	v_fmac_f32_e32 v18, v6, v73
	v_fma_f32 v19, v7, v73, -v19
	s_waitcnt vmcnt(10)
	v_mul_f32_e32 v6, v9, v72
	v_mul_f32_e32 v7, v8, v72
	v_fmac_f32_e32 v6, v8, v71
	v_fma_f32 v7, v9, v71, -v7
	ds_write2_b64 v79, v[18:19], v[6:7] offset1:27
	s_waitcnt vmcnt(7)
	v_mul_f32_e32 v8, v11, v70
	v_mul_f32_e32 v9, v10, v70
	v_fmac_f32_e32 v8, v10, v69
	v_fma_f32 v9, v11, v69, -v9
	s_waitcnt vmcnt(6)
	v_mul_f32_e32 v6, v13, v68
	v_mul_f32_e32 v7, v12, v68
	s_waitcnt vmcnt(4)
	v_mul_f32_e32 v10, v5, v66
	v_mul_f32_e32 v11, v4, v66
	v_fmac_f32_e32 v10, v4, v65
	v_fma_f32 v11, v5, v65, -v11
	v_fmac_f32_e32 v6, v12, v67
	s_waitcnt vmcnt(2)
	v_mul_f32_e32 v4, v15, v64
	v_mul_f32_e32 v5, v14, v64
	v_fmac_f32_e32 v4, v14, v63
	v_fma_f32 v5, v15, v63, -v5
	ds_write2_b64 v79, v[10:11], v[4:5] offset0:108 offset1:135
	s_waitcnt vmcnt(0)
	v_mul_f32_e32 v4, v17, v61
	v_mul_f32_e32 v5, v16, v61
	v_fma_f32 v7, v13, v67, -v7
	v_fmac_f32_e32 v4, v16, v60
	v_fma_f32 v5, v17, v60, -v5
	ds_write2_b64 v79, v[8:9], v[6:7] offset0:54 offset1:81
	ds_write_b64 v79, v[4:5] offset:1296
	s_and_saveexec_b64 s[2:3], vcc
	s_cbranch_execz .LBB0_3
; %bb.2:
	v_mad_u64_u32 v[4:5], s[0:1], s12, v80, 0
	v_mov_b32_e32 v6, 0xfffffb98
	v_mad_u64_u32 v[0:1], s[0:1], s12, v6, v[0:1]
	v_mad_u64_u32 v[5:6], s[0:1], s13, v80, v[5:6]
	s_mul_i32 s18, s13, 0xfffffb98
	s_sub_i32 s0, s18, s12
	v_add_u32_e32 v1, s0, v1
	v_lshlrev_b64 v[4:5], 3, v[4:5]
	v_mov_b32_e32 v8, 0x1b0
	global_load_dwordx2 v[6:7], v[0:1], off
	v_mad_u64_u32 v[0:1], s[0:1], s12, v8, v[0:1]
	v_add_co_u32_e64 v2, s[0:1], v2, v4
	v_addc_co_u32_e64 v3, s[0:1], v3, v5, s[0:1]
	s_mul_i32 s0, s13, 0x1b0
	v_add_u32_e32 v1, s0, v1
	global_load_dwordx2 v[2:3], v[2:3], off
	s_nop 0
	global_load_dwordx2 v[4:5], v[0:1], off
	global_load_dwordx2 v[8:9], v[58:59], off offset:168
	global_load_dwordx2 v[10:11], v[58:59], off offset:384
	;; [unrolled: 1-line block ×3, first 2 shown]
	v_mov_b32_e32 v26, s17
	v_add_co_u32_e64 v0, s[0:1], s16, v0
	v_addc_co_u32_e64 v1, s[0:1], v1, v26, s[0:1]
	global_load_dwordx2 v[14:15], v[0:1], off
	global_load_dwordx2 v[16:17], v[58:59], off offset:816
	v_add_co_u32_e64 v0, s[0:1], s16, v0
	v_addc_co_u32_e64 v1, s[0:1], v1, v26, s[0:1]
	global_load_dwordx2 v[18:19], v[0:1], off
	global_load_dwordx2 v[20:21], v[58:59], off offset:1032
	;; [unrolled: 4-line block ×3, first 2 shown]
	v_add_co_u32_e64 v0, s[0:1], s16, v0
	v_addc_co_u32_e64 v1, s[0:1], v1, v26, s[0:1]
	global_load_dwordx2 v[26:27], v[58:59], off offset:1464
	global_load_dwordx2 v[28:29], v[0:1], off
	s_waitcnt vmcnt(10)
	v_mul_f32_e32 v0, v7, v9
	v_mul_f32_e32 v1, v6, v9
	v_fmac_f32_e32 v0, v6, v8
	v_fma_f32 v1, v7, v8, -v1
	s_waitcnt vmcnt(9)
	v_mul_f32_e32 v8, v3, v11
	v_mul_f32_e32 v9, v2, v11
	s_waitcnt vmcnt(8)
	v_mul_f32_e32 v6, v5, v13
	v_mul_f32_e32 v7, v4, v13
	v_fmac_f32_e32 v8, v2, v10
	v_fma_f32 v9, v3, v10, -v9
	v_fmac_f32_e32 v6, v4, v12
	v_fma_f32 v7, v5, v12, -v7
	s_waitcnt vmcnt(6)
	v_mul_f32_e32 v4, v15, v17
	v_mul_f32_e32 v5, v14, v17
	s_waitcnt vmcnt(4)
	v_mul_f32_e32 v11, v19, v21
	v_mul_f32_e32 v12, v18, v21
	ds_write2_b64 v79, v[0:1], v[8:9] offset0:21 offset1:48
	v_fmac_f32_e32 v4, v14, v16
	s_waitcnt vmcnt(2)
	v_mul_f32_e32 v2, v23, v25
	v_mul_f32_e32 v3, v22, v25
	v_fma_f32 v5, v15, v16, -v5
	v_fmac_f32_e32 v11, v18, v20
	v_fma_f32 v12, v19, v20, -v12
	s_waitcnt vmcnt(0)
	v_mul_f32_e32 v0, v29, v27
	v_mul_f32_e32 v1, v28, v27
	v_fmac_f32_e32 v2, v22, v24
	v_fma_f32 v3, v23, v24, -v3
	v_fmac_f32_e32 v0, v28, v26
	v_fma_f32 v1, v29, v26, -v1
	ds_write2_b64 v79, v[6:7], v[4:5] offset0:75 offset1:102
	ds_write2_b64 v79, v[11:12], v[2:3] offset0:129 offset1:156
	ds_write_b64 v79, v[0:1] offset:1464
.LBB0_3:
	s_or_b64 exec, exec, s[2:3]
	s_waitcnt lgkmcnt(0)
	; wave barrier
	s_waitcnt lgkmcnt(0)
	ds_read2_b64 v[12:15], v79 offset1:27
	ds_read2_b64 v[16:19], v79 offset0:54 offset1:81
	ds_read2_b64 v[20:23], v79 offset0:108 offset1:135
	ds_read_b64 v[26:27], v79 offset:1296
	s_load_dwordx2 s[2:3], s[4:5], 0x8
	v_mov_b32_e32 v2, 0
	v_mov_b32_e32 v3, 0
	;; [unrolled: 1-line block ×8, first 2 shown]
                                        ; implicit-def: $vgpr24
	s_and_saveexec_b64 s[0:1], vcc
	s_cbranch_execz .LBB0_5
; %bb.4:
	ds_read2_b64 v[0:3], v79 offset0:21 offset1:48
	ds_read2_b64 v[4:7], v79 offset0:75 offset1:102
	;; [unrolled: 1-line block ×3, first 2 shown]
	ds_read_b64 v[24:25], v79 offset:1464
.LBB0_5:
	s_or_b64 exec, exec, s[0:1]
	s_waitcnt lgkmcnt(0)
	v_add_f32_e32 v28, v14, v26
	v_sub_f32_e32 v14, v14, v26
	v_add_f32_e32 v26, v16, v22
	v_add_f32_e32 v29, v15, v27
	v_sub_f32_e32 v15, v15, v27
	v_add_f32_e32 v27, v17, v23
	v_sub_f32_e32 v16, v16, v22
	;; [unrolled: 2-line block ×5, first 2 shown]
	v_add_f32_e32 v21, v27, v29
	v_add_f32_e32 v33, v18, v16
	;; [unrolled: 1-line block ×3, first 2 shown]
	v_sub_f32_e32 v30, v26, v28
	v_sub_f32_e32 v28, v28, v22
	;; [unrolled: 1-line block ×3, first 2 shown]
	v_add_f32_e32 v34, v19, v17
	v_sub_f32_e32 v35, v18, v16
	v_sub_f32_e32 v18, v14, v18
	v_sub_f32_e32 v16, v16, v14
	v_add_f32_e32 v21, v23, v21
	v_add_f32_e32 v22, v33, v14
	;; [unrolled: 1-line block ×3, first 2 shown]
	v_add_co_u32_e64 v32, s[0:1], 21, v81
	v_sub_f32_e32 v31, v27, v29
	v_sub_f32_e32 v29, v29, v23
	;; [unrolled: 1-line block ×6, first 2 shown]
	v_add_f32_e32 v23, v34, v15
	v_add_f32_e32 v15, v13, v21
	v_mov_b32_e32 v37, v14
	v_mul_f32_e32 v12, 0x3f4a47b2, v28
	v_mul_f32_e32 v13, 0x3f4a47b2, v29
	;; [unrolled: 1-line block ×6, first 2 shown]
	s_mov_b32 s0, 0x3f5ff5aa
	v_fmac_f32_e32 v37, 0xbf955555, v20
	v_mov_b32_e32 v20, v15
	s_mov_b32 s1, 0x3f3bfb3b
	s_mov_b32 s4, 0xbf3bfb3b
	v_mul_f32_e32 v35, 0x3f5ff5aa, v16
	v_mul_f32_e32 v36, 0x3f5ff5aa, v17
	v_fmac_f32_e32 v20, 0xbf955555, v21
	v_fma_f32 v21, v30, s1, -v28
	v_fma_f32 v28, v31, s1, -v29
	;; [unrolled: 1-line block ×3, first 2 shown]
	v_fmac_f32_e32 v12, 0x3d64c772, v26
	v_fma_f32 v26, v31, s4, -v13
	v_fmac_f32_e32 v13, 0x3d64c772, v27
	v_fma_f32 v27, v16, s0, -v33
	v_fma_f32 v30, v17, s0, -v34
	v_fmac_f32_e32 v34, 0x3eae86e6, v19
	s_mov_b32 s5, 0xbeae86e6
	v_fmac_f32_e32 v33, 0x3eae86e6, v18
	v_fma_f32 v31, v18, s5, -v35
	v_fma_f32 v35, v19, s5, -v36
	v_add_f32_e32 v12, v12, v37
	v_add_f32_e32 v28, v28, v20
	v_fmac_f32_e32 v34, 0x3ee1c552, v23
	v_fmac_f32_e32 v27, 0x3ee1c552, v22
	v_add_f32_e32 v13, v13, v20
	v_add_f32_e32 v36, v21, v37
	;; [unrolled: 1-line block ×3, first 2 shown]
	v_fmac_f32_e32 v33, 0x3ee1c552, v22
	v_fmac_f32_e32 v30, 0x3ee1c552, v23
	v_fmac_f32_e32 v35, 0x3ee1c552, v23
	v_add_f32_e32 v16, v12, v34
	v_add_f32_e32 v21, v27, v28
	v_sub_f32_e32 v23, v28, v27
	v_sub_f32_e32 v28, v12, v34
	v_add_f32_e32 v12, v24, v2
	v_sub_f32_e32 v2, v2, v24
	v_add_f32_e32 v24, v10, v4
	v_add_f32_e32 v37, v26, v20
	v_sub_f32_e32 v17, v13, v33
	v_add_f32_e32 v18, v35, v29
	v_sub_f32_e32 v26, v29, v35
	v_add_f32_e32 v29, v33, v13
	v_add_f32_e32 v13, v25, v3
	v_sub_f32_e32 v3, v3, v25
	v_add_f32_e32 v25, v11, v5
	v_sub_f32_e32 v4, v4, v10
	v_add_f32_e32 v10, v6, v8
	v_sub_f32_e32 v6, v8, v6
	v_add_f32_e32 v8, v12, v24
	v_sub_f32_e32 v5, v5, v11
	v_add_f32_e32 v11, v7, v9
	v_sub_f32_e32 v7, v9, v7
	v_add_f32_e32 v9, v13, v25
	v_add_f32_e32 v8, v8, v10
	v_fmac_f32_e32 v31, 0x3ee1c552, v22
	v_add_f32_e32 v33, v4, v6
	v_sub_f32_e32 v35, v6, v4
	v_sub_f32_e32 v39, v4, v2
	v_add_f32_e32 v9, v9, v11
	v_add_f32_e32 v4, v8, v0
	v_sub_f32_e32 v19, v37, v31
	v_sub_f32_e32 v20, v36, v30
	v_add_f32_e32 v22, v30, v36
	v_add_f32_e32 v27, v31, v37
	v_sub_f32_e32 v30, v24, v12
	v_sub_f32_e32 v31, v25, v13
	;; [unrolled: 1-line block ×6, first 2 shown]
	v_add_f32_e32 v34, v5, v7
	v_sub_f32_e32 v36, v7, v5
	v_sub_f32_e32 v37, v2, v6
	;; [unrolled: 1-line block ×3, first 2 shown]
	v_add_f32_e32 v2, v2, v33
	v_add_f32_e32 v5, v9, v1
	v_mov_b32_e32 v33, v4
	v_sub_f32_e32 v38, v3, v7
	v_mul_f32_e32 v0, 0x3f4a47b2, v12
	v_mul_f32_e32 v1, 0x3f4a47b2, v13
	v_mul_f32_e32 v10, 0x3d64c772, v24
	v_mul_f32_e32 v11, 0x3d64c772, v25
	v_mul_f32_e32 v6, 0xbf08b237, v35
	v_mul_f32_e32 v7, 0xbf08b237, v36
	v_mul_f32_e32 v24, 0x3f5ff5aa, v39
	v_mul_f32_e32 v25, 0x3f5ff5aa, v40
	v_fmac_f32_e32 v33, 0xbf955555, v8
	v_mov_b32_e32 v8, v5
	v_add_f32_e32 v3, v3, v34
	v_fmac_f32_e32 v8, 0xbf955555, v9
	v_fma_f32 v9, v30, s1, -v10
	v_fmac_f32_e32 v10, 0x3f4a47b2, v12
	v_fma_f32 v34, v31, s1, -v11
	;; [unrolled: 2-line block ×3, first 2 shown]
	v_fma_f32 v1, v31, s4, -v1
	v_fma_f32 v30, v39, s0, -v6
	;; [unrolled: 1-line block ×5, first 2 shown]
	v_fmac_f32_e32 v6, 0x3eae86e6, v37
	v_fmac_f32_e32 v7, 0x3eae86e6, v38
	v_add_f32_e32 v12, v10, v33
	v_add_f32_e32 v13, v11, v8
	;; [unrolled: 1-line block ×6, first 2 shown]
	v_fmac_f32_e32 v30, 0x3ee1c552, v2
	v_fmac_f32_e32 v31, 0x3ee1c552, v3
	;; [unrolled: 1-line block ×6, first 2 shown]
	v_add_f32_e32 v0, v11, v25
	v_sub_f32_e32 v1, v33, v24
	v_sub_f32_e32 v2, v9, v31
	v_add_f32_e32 v3, v30, v10
	v_add_f32_e32 v8, v9, v31
	v_sub_f32_e32 v9, v10, v30
	v_sub_f32_e32 v10, v11, v25
	v_add_f32_e32 v11, v24, v33
	v_mul_lo_u16_e32 v24, 7, v81
	v_sub_f32_e32 v75, v12, v7
	v_add_f32_e32 v76, v6, v13
	v_lshl_add_u32 v85, v24, 3, v82
	v_mul_u32_u24_e32 v84, 7, v32
	s_waitcnt lgkmcnt(0)
	; wave barrier
	ds_write2_b64 v85, v[14:15], v[16:17] offset1:1
	ds_write2_b64 v85, v[18:19], v[20:21] offset0:2 offset1:3
	ds_write2_b64 v85, v[22:23], v[26:27] offset0:4 offset1:5
	ds_write_b64 v85, v[28:29] offset:48
	s_and_saveexec_b64 s[0:1], vcc
	s_cbranch_execz .LBB0_7
; %bb.6:
	v_sub_f32_e32 v13, v13, v6
	v_add_f32_e32 v12, v12, v7
	v_lshl_add_u32 v6, v84, 3, v82
	ds_write2_b64 v6, v[4:5], v[12:13] offset1:1
	ds_write2_b64 v6, v[0:1], v[2:3] offset0:2 offset1:3
	ds_write2_b64 v6, v[8:9], v[10:11] offset0:4 offset1:5
	ds_write_b64 v6, v[75:76] offset:48
.LBB0_7:
	s_or_b64 exec, exec, s[0:1]
	v_add_co_u32_e64 v43, s[0:1], 42, v81
	v_mov_b32_e32 v16, 37
	v_mul_lo_u16_sdwa v4, v43, v16 dst_sel:DWORD dst_unused:UNUSED_PAD src0_sel:BYTE_0 src1_sel:DWORD
	v_mul_lo_u16_sdwa v13, v32, v16 dst_sel:DWORD dst_unused:UNUSED_PAD src0_sel:BYTE_0 src1_sel:DWORD
	;; [unrolled: 1-line block ×3, first 2 shown]
	v_sub_u16_sdwa v17, v81, v16 dst_sel:DWORD dst_unused:UNUSED_PAD src0_sel:DWORD src1_sel:BYTE_1
	v_sub_u16_sdwa v5, v43, v4 dst_sel:DWORD dst_unused:UNUSED_PAD src0_sel:DWORD src1_sel:BYTE_1
	;; [unrolled: 1-line block ×3, first 2 shown]
	v_lshrrev_b16_e32 v17, 1, v17
	v_lshrrev_b16_e32 v5, 1, v5
	;; [unrolled: 1-line block ×3, first 2 shown]
	v_and_b32_e32 v17, 0x7f, v17
	v_and_b32_e32 v5, 0x7f, v5
	;; [unrolled: 1-line block ×3, first 2 shown]
	v_add_u16_sdwa v16, v17, v16 dst_sel:DWORD dst_unused:UNUSED_PAD src0_sel:DWORD src1_sel:BYTE_1
	v_add_u16_sdwa v4, v5, v4 dst_sel:DWORD dst_unused:UNUSED_PAD src0_sel:DWORD src1_sel:BYTE_1
	v_add_u16_sdwa v13, v14, v13 dst_sel:DWORD dst_unused:UNUSED_PAD src0_sel:DWORD src1_sel:BYTE_1
	v_lshrrev_b16_e32 v45, 2, v16
	v_lshrrev_b16_e32 v39, 2, v4
	;; [unrolled: 1-line block ×3, first 2 shown]
	v_mul_lo_u16_e32 v16, 7, v45
	v_mul_lo_u16_e32 v4, 7, v39
	v_mul_lo_u16_e32 v13, 7, v41
	v_sub_u16_e32 v46, v81, v16
	v_mov_b32_e32 v12, 4
	v_sub_u16_e32 v40, v43, v4
	v_sub_u16_e32 v42, v32, v13
	v_lshlrev_b16_e32 v16, 1, v46
	v_lshlrev_b32_sdwa v4, v12, v40 dst_sel:DWORD dst_unused:UNUSED_PAD src0_sel:DWORD src1_sel:BYTE_0
	v_lshlrev_b32_sdwa v12, v12, v42 dst_sel:DWORD dst_unused:UNUSED_PAD src0_sel:DWORD src1_sel:BYTE_0
	v_and_b32_e32 v16, 0xfe, v16
	s_waitcnt lgkmcnt(0)
	; wave barrier
	s_waitcnt lgkmcnt(0)
	global_load_dwordx4 v[4:7], v4, s[2:3]
	v_lshlrev_b32_e32 v16, 3, v16
	global_load_dwordx4 v[12:15], v12, s[2:3]
	v_mad_legacy_u16 v45, v45, 21, v46
	global_load_dwordx4 v[16:19], v16, s[2:3]
	ds_read2_b64 v[20:23], v79 offset0:84 offset1:105
	ds_read2_b64 v[24:27], v79 offset1:21
	ds_read_b64 v[37:38], v79 offset:1344
	ds_read2_b64 v[28:31], v79 offset0:42 offset1:63
	ds_read2_b64 v[33:36], v79 offset0:126 offset1:147
	v_and_b32_e32 v45, 0xff, v45
	v_lshl_add_u32 v86, v45, 3, v82
	s_waitcnt lgkmcnt(0)
	; wave barrier
	s_waitcnt lgkmcnt(0)
	s_movk_i32 s0, 0x87
	v_lshlrev_b32_e32 v32, 4, v32
	s_waitcnt vmcnt(2)
	v_mul_f32_e32 v47, v23, v5
	v_mul_f32_e32 v48, v22, v5
	s_waitcnt vmcnt(1)
	v_mul_f32_e32 v51, v21, v13
	v_mul_f32_e32 v52, v20, v13
	;; [unrolled: 1-line block ×5, first 2 shown]
	v_fma_f32 v47, v22, v4, -v47
	v_fmac_f32_e32 v48, v23, v4
	v_fma_f32 v20, v20, v12, -v51
	v_fmac_f32_e32 v52, v21, v12
	;; [unrolled: 2-line block ×3, first 2 shown]
	s_waitcnt vmcnt(0)
	v_mul_f32_e32 v22, v31, v17
	v_mul_f32_e32 v23, v30, v17
	;; [unrolled: 1-line block ×5, first 2 shown]
	v_fma_f32 v49, v37, v6, -v49
	v_add_f32_e32 v37, v26, v20
	v_fma_f32 v22, v30, v16, -v22
	v_fmac_f32_e32 v23, v31, v16
	v_fma_f32 v30, v33, v18, -v35
	v_fmac_f32_e32 v36, v34, v18
	v_fmac_f32_e32 v50, v38, v6
	v_add_f32_e32 v38, v20, v21
	v_sub_f32_e32 v55, v20, v21
	v_add_f32_e32 v20, v37, v21
	v_add_f32_e32 v33, v22, v30
	;; [unrolled: 1-line block ×5, first 2 shown]
	v_fma_f32 v24, -0.5, v33, v24
	v_fma_f32 v25, -0.5, v37, v25
	;; [unrolled: 1-line block ×3, first 2 shown]
	v_sub_f32_e32 v35, v23, v36
	v_sub_f32_e32 v38, v22, v30
	v_add_f32_e32 v30, v31, v30
	v_add_f32_e32 v31, v34, v36
	v_mov_b32_e32 v33, v24
	v_mov_b32_e32 v34, v25
	v_sub_f32_e32 v51, v52, v54
	v_add_f32_e32 v53, v27, v52
	v_add_f32_e32 v52, v52, v54
	v_fmac_f32_e32 v24, 0xbf5db3d7, v35
	v_fmac_f32_e32 v33, 0x3f5db3d7, v35
	v_fmac_f32_e32 v34, 0xbf5db3d7, v38
	v_fmac_f32_e32 v27, -0.5, v52
	v_fmac_f32_e32 v25, 0x3f5db3d7, v38
	ds_write2_b64 v86, v[30:31], v[33:34] offset1:7
	ds_write_b64 v86, v[24:25] offset:112
	v_mul_u32_u24_e32 v24, 21, v41
	v_mov_b32_e32 v22, v26
	v_mov_b32_e32 v23, v27
	v_add_u32_sdwa v24, v24, v42 dst_sel:DWORD dst_unused:UNUSED_PAD src0_sel:DWORD src1_sel:BYTE_0
	v_add_f32_e32 v21, v53, v54
	v_fmac_f32_e32 v22, 0x3f5db3d7, v51
	v_fmac_f32_e32 v23, 0xbf5db3d7, v55
	v_lshl_add_u32 v87, v24, 3, v82
	v_fmac_f32_e32 v26, 0xbf5db3d7, v51
	v_fmac_f32_e32 v27, 0x3f5db3d7, v55
	v_add_f32_e32 v36, v47, v49
	ds_write2_b64 v87, v[20:21], v[22:23] offset1:7
	ds_write_b64 v87, v[26:27] offset:112
	v_mul_u32_u24_e32 v20, 21, v39
	v_add_f32_e32 v35, v28, v47
	v_fma_f32 v28, -0.5, v36, v28
	v_add_u32_sdwa v20, v20, v40 dst_sel:DWORD dst_unused:UNUSED_PAD src0_sel:DWORD src1_sel:BYTE_0
	v_sub_f32_e32 v36, v48, v50
	v_mov_b32_e32 v37, v28
	v_add_f32_e32 v38, v48, v50
	v_lshl_add_u32 v88, v20, 3, v82
	v_mul_lo_u16_sdwa v20, v43, s0 dst_sel:DWORD dst_unused:UNUSED_PAD src0_sel:BYTE_0 src1_sel:DWORD
	v_fmac_f32_e32 v37, 0x3f5db3d7, v36
	v_fmac_f32_e32 v28, 0xbf5db3d7, v36
	v_add_f32_e32 v36, v29, v48
	v_fmac_f32_e32 v29, -0.5, v38
	v_sub_u16_sdwa v21, v43, v20 dst_sel:DWORD dst_unused:UNUSED_PAD src0_sel:DWORD src1_sel:BYTE_1
	v_sub_f32_e32 v47, v47, v49
	v_mov_b32_e32 v38, v29
	v_lshrrev_b16_e32 v21, 1, v21
	v_add_f32_e32 v35, v35, v49
	v_add_f32_e32 v36, v36, v50
	v_fmac_f32_e32 v38, 0xbf5db3d7, v47
	v_lshlrev_b32_e32 v49, 4, v81
	v_and_b32_e32 v21, 0x7f, v21
	v_fmac_f32_e32 v29, 0x3f5db3d7, v47
	ds_write2_b64 v88, v[35:36], v[37:38] offset1:7
	ds_write_b64 v88, v[28:29] offset:112
	s_waitcnt lgkmcnt(0)
	; wave barrier
	s_waitcnt lgkmcnt(0)
	global_load_dwordx4 v[24:27], v49, s[2:3] offset:112
	v_add_u16_sdwa v20, v21, v20 dst_sel:DWORD dst_unused:UNUSED_PAD src0_sel:DWORD src1_sel:BYTE_1
	v_lshrrev_b16_e32 v20, 4, v20
	v_and_b32_e32 v20, 15, v20
	v_mul_lo_u16_e32 v20, 21, v20
	v_sub_u16_e32 v20, v43, v20
	v_and_b32_e32 v50, 0xff, v20
	v_lshlrev_b32_e32 v20, 4, v50
	global_load_dwordx4 v[20:23], v20, s[2:3] offset:112
	ds_read2_b64 v[28:31], v79 offset0:42 offset1:63
	ds_read2_b64 v[33:36], v79 offset1:21
	ds_read2_b64 v[37:40], v79 offset0:126 offset1:147
	ds_read2_b64 v[45:48], v79 offset0:84 offset1:105
	ds_read_b64 v[41:42], v79 offset:1344
	s_waitcnt lgkmcnt(0)
	; wave barrier
	s_waitcnt lgkmcnt(0)
	s_add_u32 s0, s14, 0x5e8
	s_addc_u32 s1, s15, 0
	s_waitcnt vmcnt(1)
	v_mul_f32_e32 v51, v31, v25
	v_mul_f32_e32 v53, v38, v27
	;; [unrolled: 1-line block ×4, first 2 shown]
	v_fma_f32 v53, v37, v26, -v53
	v_fmac_f32_e32 v54, v38, v26
	v_fma_f32 v38, v30, v24, -v51
	v_fmac_f32_e32 v52, v31, v24
	v_add_f32_e32 v31, v38, v53
	v_mul_f32_e32 v57, v40, v27
	v_add_f32_e32 v30, v33, v38
	v_fma_f32 v33, -0.5, v31, v33
	v_mul_f32_e32 v55, v46, v25
	v_mul_f32_e32 v77, v39, v27
	v_fma_f32 v57, v39, v26, -v57
	v_sub_f32_e32 v31, v52, v54
	v_mov_b32_e32 v37, v33
	v_add_f32_e32 v39, v52, v54
	v_mul_f32_e32 v56, v45, v25
	v_fma_f32 v45, v45, v24, -v55
	v_fmac_f32_e32 v37, 0x3f5db3d7, v31
	v_fmac_f32_e32 v33, 0xbf5db3d7, v31
	v_add_f32_e32 v31, v34, v52
	v_fma_f32 v34, -0.5, v39, v34
	v_fmac_f32_e32 v77, v40, v26
	v_sub_f32_e32 v39, v38, v53
	v_mov_b32_e32 v38, v34
	v_add_f32_e32 v40, v45, v57
	s_waitcnt vmcnt(0)
	v_mul_f32_e32 v83, v47, v21
	v_mul_f32_e32 v89, v42, v23
	;; [unrolled: 1-line block ×3, first 2 shown]
	v_fmac_f32_e32 v56, v46, v24
	v_fmac_f32_e32 v38, 0xbf5db3d7, v39
	;; [unrolled: 1-line block ×3, first 2 shown]
	v_add_f32_e32 v39, v35, v45
	v_fma_f32 v35, -0.5, v40, v35
	v_mul_f32_e32 v78, v48, v21
	v_fmac_f32_e32 v83, v48, v20
	v_fma_f32 v48, v41, v22, -v89
	v_fmac_f32_e32 v90, v42, v22
	v_sub_f32_e32 v40, v56, v77
	v_mov_b32_e32 v41, v35
	v_add_f32_e32 v42, v56, v77
	v_fma_f32 v51, v47, v20, -v78
	v_fmac_f32_e32 v41, 0x3f5db3d7, v40
	v_fmac_f32_e32 v35, 0xbf5db3d7, v40
	v_add_f32_e32 v40, v36, v56
	v_fmac_f32_e32 v36, -0.5, v42
	v_sub_f32_e32 v45, v45, v57
	v_mov_b32_e32 v42, v36
	v_add_f32_e32 v46, v51, v48
	v_fmac_f32_e32 v42, 0xbf5db3d7, v45
	v_fmac_f32_e32 v36, 0x3f5db3d7, v45
	v_add_f32_e32 v45, v28, v51
	v_fma_f32 v28, -0.5, v46, v28
	v_sub_f32_e32 v46, v83, v90
	v_mov_b32_e32 v47, v28
	v_add_f32_e32 v52, v83, v90
	v_fmac_f32_e32 v47, 0x3f5db3d7, v46
	v_fmac_f32_e32 v28, 0xbf5db3d7, v46
	v_add_f32_e32 v46, v29, v83
	v_fmac_f32_e32 v29, -0.5, v52
	v_add_f32_e32 v45, v45, v48
	v_sub_f32_e32 v51, v51, v48
	v_mov_b32_e32 v48, v29
	v_add_f32_e32 v30, v30, v53
	v_add_f32_e32 v31, v31, v54
	;; [unrolled: 1-line block ×3, first 2 shown]
	v_fmac_f32_e32 v48, 0xbf5db3d7, v51
	v_fmac_f32_e32 v29, 0x3f5db3d7, v51
	v_lshl_add_u32 v89, v50, 3, v82
	v_add_f32_e32 v39, v39, v57
	v_add_f32_e32 v40, v40, v77
	ds_write2_b64 v79, v[30:31], v[37:38] offset1:21
	ds_write2_b64 v79, v[33:34], v[39:40] offset0:42 offset1:63
	ds_write2_b64 v79, v[41:42], v[35:36] offset0:84 offset1:105
	;; [unrolled: 1-line block ×3, first 2 shown]
	ds_write_b64 v89, v[28:29] offset:1344
	s_waitcnt lgkmcnt(0)
	; wave barrier
	s_waitcnt lgkmcnt(0)
	global_load_dwordx4 v[28:31], v49, s[2:3] offset:448
	v_lshlrev_b32_e32 v36, 4, v43
	global_load_dwordx4 v[32:35], v32, s[2:3] offset:448
	s_nop 0
	global_load_dwordx4 v[36:39], v36, s[2:3] offset:448
	ds_read2_b64 v[40:43], v79 offset0:42 offset1:63
	ds_read2_b64 v[45:48], v79 offset0:126 offset1:147
	;; [unrolled: 1-line block ×3, first 2 shown]
	ds_read2_b64 v[53:56], v79 offset1:21
	s_waitcnt vmcnt(2) lgkmcnt(3)
	v_mul_f32_e32 v57, v43, v29
	s_waitcnt lgkmcnt(2)
	v_mul_f32_e32 v78, v46, v31
	v_fma_f32 v78, v45, v30, -v78
	v_fma_f32 v57, v42, v28, -v57
	v_mul_f32_e32 v77, v42, v29
	v_mul_f32_e32 v90, v45, v31
	v_add_f32_e32 v42, v57, v78
	s_waitcnt vmcnt(1)
	v_mul_f32_e32 v83, v48, v35
	v_mul_f32_e32 v91, v47, v35
	v_fmac_f32_e32 v90, v46, v30
	v_fmac_f32_e32 v77, v43, v28
	s_waitcnt lgkmcnt(0)
	v_fma_f32 v42, -0.5, v42, v53
	v_fma_f32 v96, v47, v34, -v83
	v_fmac_f32_e32 v91, v48, v34
	v_sub_f32_e32 v43, v77, v90
	v_mov_b32_e32 v45, v42
	ds_read_b64 v[47:48], v79 offset:1344
	v_fmac_f32_e32 v45, 0x3f5db3d7, v43
	v_fmac_f32_e32 v42, 0xbf5db3d7, v43
	v_add_f32_e32 v43, v77, v90
	v_mul_f32_e32 v93, v49, v33
	s_waitcnt vmcnt(0)
	v_mul_f32_e32 v94, v52, v37
	v_fma_f32 v43, -0.5, v43, v54
	v_mul_f32_e32 v92, v50, v33
	v_mul_f32_e32 v95, v51, v37
	v_fmac_f32_e32 v93, v50, v32
	v_fma_f32 v50, v51, v36, -v94
	v_mov_b32_e32 v46, v43
	v_sub_f32_e32 v51, v57, v78
	v_fmac_f32_e32 v46, 0xbf5db3d7, v51
	v_fmac_f32_e32 v43, 0x3f5db3d7, v51
	v_lshl_add_u32 v83, v81, 3, v82
	ds_write2_b64 v83, v[45:46], v[42:43] offset0:63 offset1:126
	s_waitcnt lgkmcnt(1)
	v_mul_f32_e32 v42, v48, v39
	v_fma_f32 v51, v47, v38, -v42
	v_add_f32_e32 v42, v53, v57
	v_add_f32_e32 v43, v54, v77
	v_fma_f32 v49, v49, v32, -v92
	v_add_f32_e32 v42, v42, v78
	v_add_f32_e32 v43, v43, v90
	ds_write_b64 v79, v[42:43]
	v_add_f32_e32 v43, v49, v96
	v_add_f32_e32 v42, v55, v49
	v_fma_f32 v55, -0.5, v43, v55
	v_sub_f32_e32 v43, v93, v91
	v_mov_b32_e32 v45, v55
	v_add_f32_e32 v46, v93, v91
	v_fmac_f32_e32 v95, v52, v36
	v_mul_f32_e32 v52, v47, v39
	v_fmac_f32_e32 v45, 0x3f5db3d7, v43
	v_fmac_f32_e32 v55, 0xbf5db3d7, v43
	v_add_f32_e32 v43, v56, v93
	v_fmac_f32_e32 v56, -0.5, v46
	v_fmac_f32_e32 v52, v48, v38
	v_sub_f32_e32 v47, v49, v96
	v_mov_b32_e32 v46, v56
	v_add_f32_e32 v48, v50, v51
	v_add_f32_e32 v42, v42, v96
	;; [unrolled: 1-line block ×3, first 2 shown]
	v_fmac_f32_e32 v46, 0xbf5db3d7, v47
	v_fmac_f32_e32 v56, 0x3f5db3d7, v47
	v_add_f32_e32 v47, v40, v50
	v_fma_f32 v40, -0.5, v48, v40
	ds_write_b64 v83, v[42:43] offset:168
	v_sub_f32_e32 v43, v95, v52
	v_mov_b32_e32 v42, v40
	v_fmac_f32_e32 v42, 0x3f5db3d7, v43
	v_fmac_f32_e32 v40, 0xbf5db3d7, v43
	v_add_f32_e32 v43, v41, v95
	v_add_f32_e32 v48, v43, v52
	;; [unrolled: 1-line block ×3, first 2 shown]
	v_fmac_f32_e32 v41, -0.5, v43
	v_sub_f32_e32 v49, v50, v51
	v_mov_b32_e32 v43, v41
	v_add_f32_e32 v47, v47, v51
	v_fmac_f32_e32 v43, 0xbf5db3d7, v49
	v_fmac_f32_e32 v41, 0x3f5db3d7, v49
	ds_write_b64 v79, v[45:46] offset:672
	ds_write_b64 v79, v[55:56] offset:1176
	;; [unrolled: 1-line block ×5, first 2 shown]
	s_waitcnt lgkmcnt(0)
	; wave barrier
	s_waitcnt lgkmcnt(0)
	global_load_dwordx2 v[53:54], v[58:59], off offset:1512
	global_load_dwordx2 v[55:56], v44, s[0:1] offset:216
	global_load_dwordx2 v[77:78], v44, s[0:1] offset:432
	;; [unrolled: 1-line block ×6, first 2 shown]
	ds_read2_b64 v[45:48], v79 offset1:27
	ds_read2_b64 v[49:52], v79 offset0:54 offset1:81
	s_waitcnt vmcnt(5) lgkmcnt(1)
	v_mul_f32_e32 v100, v48, v56
	s_waitcnt vmcnt(4) lgkmcnt(0)
	v_mul_f32_e32 v101, v50, v78
	v_mul_f32_e32 v99, v49, v78
	v_fmac_f32_e32 v99, v50, v77
	v_mul_f32_e32 v98, v46, v54
	v_mul_f32_e32 v57, v45, v54
	v_mul_f32_e32 v54, v47, v56
	v_fma_f32 v56, v45, v53, -v98
	v_fmac_f32_e32 v57, v46, v53
	v_fma_f32 v53, v47, v55, -v100
	v_fmac_f32_e32 v54, v48, v55
	ds_read2_b64 v[45:48], v79 offset0:108 offset1:135
	v_fma_f32 v98, v49, v77, -v101
	ds_read_b64 v[77:78], v79 offset:1296
	s_waitcnt vmcnt(3)
	v_mul_f32_e32 v49, v52, v91
	v_mul_f32_e32 v50, v51, v91
	v_fma_f32 v49, v51, v90, -v49
	v_fmac_f32_e32 v50, v52, v90
	s_waitcnt vmcnt(2) lgkmcnt(1)
	v_mul_f32_e32 v51, v46, v93
	v_mul_f32_e32 v52, v45, v93
	v_fma_f32 v51, v45, v92, -v51
	v_fmac_f32_e32 v52, v46, v92
	s_waitcnt vmcnt(1)
	v_mul_f32_e32 v45, v48, v95
	v_mul_f32_e32 v46, v47, v95
	v_fma_f32 v45, v47, v94, -v45
	v_fmac_f32_e32 v46, v48, v94
	ds_write2_b64 v79, v[56:57], v[53:54] offset1:27
	ds_write2_b64 v79, v[98:99], v[49:50] offset0:54 offset1:81
	ds_write2_b64 v79, v[51:52], v[45:46] offset0:108 offset1:135
	s_waitcnt vmcnt(0) lgkmcnt(3)
	v_mul_f32_e32 v45, v78, v97
	v_mul_f32_e32 v46, v77, v97
	v_fma_f32 v45, v77, v96, -v45
	v_fmac_f32_e32 v46, v78, v96
	ds_write_b64 v79, v[45:46] offset:1296
	s_and_saveexec_b64 s[2:3], vcc
	s_cbranch_execz .LBB0_9
; %bb.8:
	v_mov_b32_e32 v45, s1
	v_add_co_u32_e64 v44, s[0:1], s0, v44
	v_addc_co_u32_e64 v45, s[0:1], 0, v45, s[0:1]
	global_load_dwordx2 v[56:57], v[44:45], off offset:168
	global_load_dwordx2 v[77:78], v[44:45], off offset:384
	;; [unrolled: 1-line block ×7, first 2 shown]
	ds_read2_b64 v[44:47], v83 offset0:21 offset1:48
	ds_read2_b64 v[48:51], v83 offset0:75 offset1:102
	;; [unrolled: 1-line block ×3, first 2 shown]
	ds_read_b64 v[100:101], v83 offset:1464
	s_waitcnt vmcnt(6) lgkmcnt(3)
	v_mul_f32_e32 v102, v45, v57
	v_mul_f32_e32 v103, v44, v57
	s_waitcnt vmcnt(5)
	v_mul_f32_e32 v104, v47, v78
	v_mul_f32_e32 v57, v46, v78
	s_waitcnt vmcnt(4) lgkmcnt(2)
	v_mul_f32_e32 v105, v49, v91
	v_mul_f32_e32 v78, v48, v91
	s_waitcnt vmcnt(3)
	v_mul_f32_e32 v106, v51, v93
	v_mul_f32_e32 v91, v50, v93
	;; [unrolled: 6-line block ×3, first 2 shown]
	s_waitcnt vmcnt(0) lgkmcnt(0)
	v_mul_f32_e32 v109, v101, v99
	v_mul_f32_e32 v97, v100, v99
	v_fma_f32 v102, v44, v56, -v102
	v_fmac_f32_e32 v103, v45, v56
	v_fma_f32 v56, v46, v77, -v104
	v_fmac_f32_e32 v57, v47, v77
	;; [unrolled: 2-line block ×7, first 2 shown]
	ds_write2_b64 v83, v[102:103], v[56:57] offset0:21 offset1:48
	ds_write2_b64 v83, v[77:78], v[90:91] offset0:75 offset1:102
	;; [unrolled: 1-line block ×3, first 2 shown]
	ds_write_b64 v83, v[96:97] offset:1464
.LBB0_9:
	s_or_b64 exec, exec, s[2:3]
	s_waitcnt lgkmcnt(0)
	; wave barrier
	s_waitcnt lgkmcnt(0)
	ds_read2_b64 v[46:49], v79 offset1:27
	ds_read2_b64 v[50:53], v79 offset0:54 offset1:81
	ds_read2_b64 v[54:57], v79 offset0:108 offset1:135
	ds_read_b64 v[77:78], v79 offset:1296
	s_and_saveexec_b64 s[0:1], vcc
	s_cbranch_execz .LBB0_11
; %bb.10:
	ds_read2_b64 v[42:45], v83 offset0:21 offset1:48
	ds_read2_b64 v[0:3], v83 offset0:75 offset1:102
	;; [unrolled: 1-line block ×3, first 2 shown]
	ds_read_b64 v[75:76], v83 offset:1464
	s_waitcnt lgkmcnt(3)
	v_mov_b32_e32 v40, v44
	v_mov_b32_e32 v41, v45
.LBB0_11:
	s_or_b64 exec, exec, s[0:1]
	s_waitcnt lgkmcnt(0)
	v_add_f32_e32 v90, v48, v77
	v_sub_f32_e32 v48, v48, v77
	v_add_f32_e32 v77, v50, v56
	v_add_f32_e32 v91, v49, v78
	v_sub_f32_e32 v49, v49, v78
	v_add_f32_e32 v78, v51, v57
	v_sub_f32_e32 v50, v50, v56
	;; [unrolled: 2-line block ×5, first 2 shown]
	v_add_f32_e32 v55, v78, v91
	v_add_f32_e32 v54, v56, v54
	;; [unrolled: 1-line block ×4, first 2 shown]
	v_sub_f32_e32 v92, v77, v90
	v_sub_f32_e32 v93, v78, v91
	;; [unrolled: 1-line block ×6, first 2 shown]
	v_add_f32_e32 v94, v52, v50
	v_add_f32_e32 v95, v53, v51
	v_sub_f32_e32 v96, v52, v50
	v_sub_f32_e32 v97, v53, v51
	v_add_f32_e32 v47, v47, v55
	v_mov_b32_e32 v98, v46
	v_sub_f32_e32 v52, v48, v52
	v_sub_f32_e32 v53, v49, v53
	;; [unrolled: 1-line block ×4, first 2 shown]
	v_add_f32_e32 v48, v94, v48
	v_add_f32_e32 v49, v95, v49
	v_mul_f32_e32 v56, 0x3f4a47b2, v90
	v_mul_f32_e32 v57, 0x3f4a47b2, v91
	;; [unrolled: 1-line block ×6, first 2 shown]
	s_mov_b32 s2, 0xbf5ff5aa
	v_fmac_f32_e32 v98, 0xbf955555, v54
	v_mov_b32_e32 v54, v47
	s_mov_b32 s3, 0x3f3bfb3b
	v_mul_f32_e32 v96, 0xbf5ff5aa, v50
	v_mul_f32_e32 v97, 0xbf5ff5aa, v51
	v_fmac_f32_e32 v54, 0xbf955555, v55
	v_fma_f32 v55, v92, s3, -v90
	v_fma_f32 v90, v93, s3, -v91
	;; [unrolled: 1-line block ×3, first 2 shown]
	v_fmac_f32_e32 v56, 0x3d64c772, v77
	v_fma_f32 v77, v93, s4, -v57
	v_fmac_f32_e32 v57, 0x3d64c772, v78
	v_fma_f32 v78, v50, s2, -v94
	;; [unrolled: 2-line block ×3, first 2 shown]
	v_fmac_f32_e32 v95, 0xbeae86e6, v53
	s_mov_b32 s5, 0x3eae86e6
	v_fma_f32 v93, v52, s5, -v96
	v_fma_f32 v96, v53, s5, -v97
	v_add_f32_e32 v97, v56, v98
	v_add_f32_e32 v99, v57, v54
	v_fmac_f32_e32 v94, 0xbee1c552, v48
	v_fmac_f32_e32 v95, 0xbee1c552, v49
	v_add_u32_e32 v45, 0xa8, v79
	v_add_u32_e32 v44, 0x150, v79
	v_add_f32_e32 v55, v55, v98
	v_add_f32_e32 v56, v90, v54
	;; [unrolled: 1-line block ×4, first 2 shown]
	v_fmac_f32_e32 v78, 0xbee1c552, v48
	v_fmac_f32_e32 v92, 0xbee1c552, v49
	;; [unrolled: 1-line block ×4, first 2 shown]
	v_add_f32_e32 v48, v97, v95
	v_sub_f32_e32 v49, v99, v94
	v_add_f32_e32 v50, v96, v57
	v_sub_f32_e32 v51, v77, v93
	v_sub_f32_e32 v52, v55, v92
	v_add_f32_e32 v53, v78, v56
	v_add_f32_e32 v54, v92, v55
	v_sub_f32_e32 v55, v56, v78
	v_sub_f32_e32 v56, v57, v96
	v_add_f32_e32 v57, v93, v77
	v_sub_f32_e32 v77, v97, v95
	v_add_f32_e32 v78, v94, v99
	s_waitcnt lgkmcnt(0)
	; wave barrier
	ds_write2_b64 v85, v[46:47], v[48:49] offset1:1
	ds_write2_b64 v85, v[50:51], v[52:53] offset0:2 offset1:3
	ds_write2_b64 v85, v[54:55], v[56:57] offset0:4 offset1:5
	ds_write_b64 v85, v[77:78] offset:48
	s_and_saveexec_b64 s[0:1], vcc
	s_cbranch_execz .LBB0_13
; %bb.12:
	v_sub_f32_e32 v48, v40, v75
	v_sub_f32_e32 v46, v8, v2
	v_sub_f32_e32 v50, v0, v10
	v_sub_f32_e32 v49, v48, v46
	v_sub_f32_e32 v47, v46, v50
	v_add_f32_e32 v46, v46, v50
	v_add_f32_e32 v53, v46, v48
	;; [unrolled: 1-line block ×4, first 2 shown]
	v_mul_f32_e32 v51, 0x3f08b237, v47
	v_sub_f32_e32 v47, v54, v46
	v_mul_f32_e32 v55, 0x3f4a47b2, v47
	v_add_f32_e32 v56, v11, v1
	v_sub_f32_e32 v47, v46, v56
	v_mov_b32_e32 v77, v55
	v_mul_f32_e32 v57, 0x3d64c772, v47
	v_fmac_f32_e32 v77, 0x3d64c772, v47
	v_add_f32_e32 v47, v56, v54
	v_add_f32_e32 v46, v46, v47
	;; [unrolled: 1-line block ×5, first 2 shown]
	v_sub_f32_e32 v8, v40, v2
	v_mov_b32_e32 v78, v43
	v_mul_f32_e32 v8, 0x3f4a47b2, v8
	v_add_f32_e32 v0, v10, v0
	v_fmac_f32_e32 v78, 0xbf955555, v46
	v_sub_f32_e32 v10, v2, v0
	v_mov_b32_e32 v46, v8
	v_mul_f32_e32 v75, 0x3d64c772, v10
	v_fmac_f32_e32 v46, 0x3d64c772, v10
	v_add_f32_e32 v10, v0, v40
	v_add_f32_e32 v2, v2, v10
	;; [unrolled: 1-line block ×3, first 2 shown]
	v_mov_b32_e32 v10, v42
	v_sub_f32_e32 v3, v9, v3
	v_sub_f32_e32 v11, v1, v11
	v_fmac_f32_e32 v10, 0xbf955555, v2
	v_sub_f32_e32 v2, v41, v76
	v_sub_f32_e32 v1, v3, v11
	;; [unrolled: 1-line block ×3, first 2 shown]
	v_mul_f32_e32 v41, 0x3f08b237, v1
	v_add_f32_e32 v1, v3, v11
	v_sub_f32_e32 v3, v50, v48
	v_sub_f32_e32 v40, v0, v40
	v_mov_b32_e32 v52, v51
	v_add_f32_e32 v90, v1, v2
	v_mul_f32_e32 v1, 0xbf5ff5aa, v3
	v_fma_f32 v0, v40, s4, -v8
	v_sub_f32_e32 v2, v11, v2
	v_fmac_f32_e32 v52, 0xbeae86e6, v49
	v_mov_b32_e32 v76, v41
	v_fma_f32 v48, v49, s5, -v1
	v_sub_f32_e32 v49, v56, v54
	v_add_f32_e32 v54, v0, v10
	v_mul_f32_e32 v0, 0xbf5ff5aa, v2
	v_fmac_f32_e32 v76, 0xbeae86e6, v9
	v_fma_f32 v1, v49, s4, -v55
	v_fma_f32 v55, v9, s5, -v0
	;; [unrolled: 1-line block ×6, first 2 shown]
	v_fmac_f32_e32 v52, 0xbee1c552, v53
	v_add_f32_e32 v77, v77, v78
	v_add_f32_e32 v85, v46, v10
	v_fmac_f32_e32 v76, 0xbee1c552, v90
	v_fmac_f32_e32 v48, 0xbee1c552, v53
	v_add_f32_e32 v50, v1, v78
	v_add_f32_e32 v8, v8, v78
	v_fmac_f32_e32 v9, 0xbee1c552, v53
	;; [unrolled: 4-line block ×3, first 2 shown]
	v_sub_f32_e32 v3, v8, v9
	v_add_f32_e32 v2, v11, v10
	v_add_f32_e32 v9, v9, v8
	v_sub_f32_e32 v8, v10, v11
	v_sub_f32_e32 v11, v50, v48
	;; [unrolled: 1-line block ×3, first 2 shown]
	v_add_f32_e32 v40, v85, v76
	v_lshl_add_u32 v48, v84, 3, v82
	v_add_f32_e32 v47, v52, v77
	v_sub_f32_e32 v46, v85, v76
	v_sub_f32_e32 v0, v54, v55
	v_add_f32_e32 v10, v55, v54
	ds_write2_b64 v48, v[42:43], v[40:41] offset1:1
	ds_write2_b64 v48, v[10:11], v[8:9] offset0:2 offset1:3
	ds_write2_b64 v48, v[2:3], v[0:1] offset0:4 offset1:5
	ds_write_b64 v48, v[46:47] offset:48
.LBB0_13:
	s_or_b64 exec, exec, s[0:1]
	s_waitcnt lgkmcnt(0)
	; wave barrier
	s_waitcnt lgkmcnt(0)
	ds_read2_b64 v[0:3], v79 offset0:42 offset1:63
	ds_read2_b64 v[8:11], v79 offset1:21
	ds_read2_b64 v[40:43], v79 offset0:126 offset1:147
	ds_read2_b64 v[46:49], v79 offset0:84 offset1:105
	ds_read_b64 v[52:53], v79 offset:1344
	s_waitcnt lgkmcnt(4)
	v_mul_f32_e32 v54, v17, v3
	v_fmac_f32_e32 v54, v16, v2
	v_mul_f32_e32 v2, v17, v2
	v_fma_f32 v16, v16, v3, -v2
	s_waitcnt lgkmcnt(2)
	v_mul_f32_e32 v17, v19, v41
	v_mul_f32_e32 v2, v19, v40
	v_fmac_f32_e32 v17, v18, v40
	v_fma_f32 v18, v18, v41, -v2
	s_waitcnt lgkmcnt(1)
	v_mul_f32_e32 v2, v13, v46
	v_mul_f32_e32 v19, v13, v47
	v_fma_f32 v13, v12, v47, -v2
	v_mul_f32_e32 v40, v15, v43
	v_mul_f32_e32 v2, v15, v42
	v_fmac_f32_e32 v40, v14, v42
	v_fma_f32 v14, v14, v43, -v2
	v_mul_f32_e32 v41, v5, v49
	v_mul_f32_e32 v2, v5, v48
	v_add_f32_e32 v3, v54, v17
	v_fmac_f32_e32 v41, v4, v48
	v_fma_f32 v42, v4, v49, -v2
	s_waitcnt lgkmcnt(0)
	v_mul_f32_e32 v43, v7, v53
	v_mul_f32_e32 v2, v7, v52
	v_fma_f32 v4, -0.5, v3, v8
	v_add_f32_e32 v5, v16, v18
	v_fmac_f32_e32 v19, v12, v46
	v_fmac_f32_e32 v43, v6, v52
	v_fma_f32 v46, v6, v53, -v2
	v_sub_f32_e32 v3, v16, v18
	v_mov_b32_e32 v6, v4
	v_fma_f32 v5, -0.5, v5, v9
	v_add_f32_e32 v2, v8, v54
	v_fmac_f32_e32 v6, 0xbf5db3d7, v3
	v_fmac_f32_e32 v4, 0x3f5db3d7, v3
	v_add_f32_e32 v3, v9, v16
	v_sub_f32_e32 v8, v54, v17
	v_mov_b32_e32 v7, v5
	v_add_f32_e32 v9, v19, v40
	v_fmac_f32_e32 v7, 0x3f5db3d7, v8
	v_fmac_f32_e32 v5, 0xbf5db3d7, v8
	v_add_f32_e32 v8, v10, v19
	v_fma_f32 v10, -0.5, v9, v10
	v_sub_f32_e32 v9, v13, v14
	v_mov_b32_e32 v12, v10
	v_fmac_f32_e32 v12, 0xbf5db3d7, v9
	v_fmac_f32_e32 v10, 0x3f5db3d7, v9
	v_add_f32_e32 v9, v11, v13
	v_add_f32_e32 v13, v13, v14
	v_fmac_f32_e32 v11, -0.5, v13
	v_add_f32_e32 v9, v9, v14
	v_sub_f32_e32 v14, v19, v40
	v_mov_b32_e32 v13, v11
	v_add_f32_e32 v15, v41, v43
	v_fmac_f32_e32 v13, 0x3f5db3d7, v14
	v_fmac_f32_e32 v11, 0xbf5db3d7, v14
	v_add_f32_e32 v14, v0, v41
	v_fma_f32 v0, -0.5, v15, v0
	v_add_f32_e32 v2, v2, v17
	v_sub_f32_e32 v15, v42, v46
	v_mov_b32_e32 v16, v0
	v_add_f32_e32 v17, v42, v46
	v_fmac_f32_e32 v16, 0xbf5db3d7, v15
	v_fmac_f32_e32 v0, 0x3f5db3d7, v15
	v_add_f32_e32 v15, v1, v42
	v_fmac_f32_e32 v1, -0.5, v17
	v_add_f32_e32 v3, v3, v18
	v_sub_f32_e32 v18, v41, v43
	v_mov_b32_e32 v17, v1
	v_add_f32_e32 v8, v8, v40
	v_add_f32_e32 v14, v14, v43
	;; [unrolled: 1-line block ×3, first 2 shown]
	v_fmac_f32_e32 v17, 0x3f5db3d7, v18
	v_fmac_f32_e32 v1, 0xbf5db3d7, v18
	s_waitcnt lgkmcnt(0)
	; wave barrier
	ds_write2_b64 v86, v[2:3], v[6:7] offset1:7
	ds_write_b64 v86, v[4:5] offset:112
	ds_write2_b64 v87, v[8:9], v[12:13] offset1:7
	ds_write_b64 v87, v[10:11] offset:112
	;; [unrolled: 2-line block ×3, first 2 shown]
	s_waitcnt lgkmcnt(0)
	; wave barrier
	s_waitcnt lgkmcnt(0)
	ds_read2_b64 v[0:3], v79 offset0:42 offset1:63
	ds_read2_b64 v[4:7], v79 offset1:21
	ds_read2_b64 v[8:11], v79 offset0:126 offset1:147
	ds_read2_b64 v[12:15], v79 offset0:84 offset1:105
	ds_read_b64 v[16:17], v79 offset:1344
	s_waitcnt lgkmcnt(4)
	v_mul_f32_e32 v18, v25, v3
	v_fmac_f32_e32 v18, v24, v2
	v_mul_f32_e32 v2, v25, v2
	v_fma_f32 v19, v24, v3, -v2
	s_waitcnt lgkmcnt(2)
	v_mul_f32_e32 v2, v27, v8
	v_mul_f32_e32 v40, v27, v9
	v_fma_f32 v9, v26, v9, -v2
	s_waitcnt lgkmcnt(1)
	v_mul_f32_e32 v41, v25, v13
	v_mul_f32_e32 v2, v25, v12
	v_fmac_f32_e32 v41, v24, v12
	v_fma_f32 v13, v24, v13, -v2
	v_mul_f32_e32 v24, v27, v11
	v_mul_f32_e32 v2, v27, v10
	v_fmac_f32_e32 v40, v26, v8
	v_fmac_f32_e32 v24, v26, v10
	v_fma_f32 v25, v26, v11, -v2
	v_mul_f32_e32 v26, v21, v15
	v_mul_f32_e32 v2, v21, v14
	v_fmac_f32_e32 v26, v20, v14
	v_fma_f32 v20, v20, v15, -v2
	s_waitcnt lgkmcnt(0)
	v_mul_f32_e32 v2, v23, v16
	v_add_f32_e32 v3, v18, v40
	v_mul_f32_e32 v21, v23, v17
	v_fma_f32 v17, v22, v17, -v2
	v_add_f32_e32 v2, v4, v18
	v_fma_f32 v4, -0.5, v3, v4
	v_sub_f32_e32 v3, v19, v9
	v_mov_b32_e32 v8, v4
	v_fmac_f32_e32 v8, 0xbf5db3d7, v3
	v_fmac_f32_e32 v4, 0x3f5db3d7, v3
	v_add_f32_e32 v3, v5, v19
	v_add_f32_e32 v3, v3, v9
	;; [unrolled: 1-line block ×3, first 2 shown]
	v_fma_f32 v5, -0.5, v9, v5
	v_sub_f32_e32 v10, v18, v40
	v_mov_b32_e32 v9, v5
	v_add_f32_e32 v11, v41, v24
	v_fmac_f32_e32 v9, 0x3f5db3d7, v10
	v_fmac_f32_e32 v5, 0xbf5db3d7, v10
	v_add_f32_e32 v10, v6, v41
	v_fma_f32 v6, -0.5, v11, v6
	v_sub_f32_e32 v11, v13, v25
	v_mov_b32_e32 v12, v6
	v_fmac_f32_e32 v12, 0xbf5db3d7, v11
	v_fmac_f32_e32 v6, 0x3f5db3d7, v11
	v_add_f32_e32 v11, v7, v13
	v_add_f32_e32 v13, v13, v25
	v_fmac_f32_e32 v21, v22, v16
	v_fmac_f32_e32 v7, -0.5, v13
	v_sub_f32_e32 v14, v41, v24
	v_mov_b32_e32 v13, v7
	v_add_f32_e32 v15, v26, v21
	v_fmac_f32_e32 v13, 0x3f5db3d7, v14
	v_fmac_f32_e32 v7, 0xbf5db3d7, v14
	v_add_f32_e32 v14, v0, v26
	v_fma_f32 v0, -0.5, v15, v0
	v_sub_f32_e32 v15, v20, v17
	v_mov_b32_e32 v16, v0
	v_fmac_f32_e32 v16, 0xbf5db3d7, v15
	v_fmac_f32_e32 v0, 0x3f5db3d7, v15
	v_add_f32_e32 v15, v1, v20
	v_add_f32_e32 v15, v15, v17
	;; [unrolled: 1-line block ×3, first 2 shown]
	v_fmac_f32_e32 v1, -0.5, v17
	v_sub_f32_e32 v18, v26, v21
	v_mov_b32_e32 v17, v1
	v_add_f32_e32 v2, v2, v40
	v_add_f32_e32 v10, v10, v24
	;; [unrolled: 1-line block ×4, first 2 shown]
	v_fmac_f32_e32 v17, 0x3f5db3d7, v18
	v_fmac_f32_e32 v1, 0xbf5db3d7, v18
	s_waitcnt lgkmcnt(0)
	; wave barrier
	ds_write2_b64 v79, v[2:3], v[8:9] offset1:21
	ds_write2_b64 v79, v[4:5], v[10:11] offset0:42 offset1:63
	ds_write2_b64 v79, v[12:13], v[6:7] offset0:84 offset1:105
	ds_write2_b64 v89, v[14:15], v[16:17] offset0:126 offset1:147
	ds_write_b64 v89, v[0:1] offset:1344
	s_waitcnt lgkmcnt(0)
	; wave barrier
	s_waitcnt lgkmcnt(0)
	ds_read2_b64 v[0:3], v79 offset0:42 offset1:63
	ds_read2_b64 v[4:7], v79 offset1:21
	ds_read2_b64 v[8:11], v79 offset0:126 offset1:147
	ds_read2_b64 v[12:15], v79 offset0:84 offset1:105
	ds_read_b64 v[16:17], v79 offset:1344
	s_waitcnt lgkmcnt(4)
	v_mul_f32_e32 v18, v29, v3
	v_fmac_f32_e32 v18, v28, v2
	v_mul_f32_e32 v2, v29, v2
	v_fma_f32 v19, v28, v3, -v2
	s_waitcnt lgkmcnt(2)
	v_mul_f32_e32 v2, v31, v8
	v_mul_f32_e32 v20, v31, v9
	v_fma_f32 v9, v30, v9, -v2
	s_waitcnt lgkmcnt(1)
	v_mul_f32_e32 v2, v33, v12
	v_mul_f32_e32 v21, v33, v13
	v_fma_f32 v13, v32, v13, -v2
	v_mul_f32_e32 v2, v35, v10
	v_fmac_f32_e32 v20, v30, v8
	v_fma_f32 v23, v34, v11, -v2
	v_mul_f32_e32 v2, v37, v14
	v_fma_f32 v25, v36, v15, -v2
	s_waitcnt lgkmcnt(0)
	v_mul_f32_e32 v2, v39, v16
	v_add_f32_e32 v3, v18, v20
	v_mul_f32_e32 v26, v39, v17
	v_fma_f32 v17, v38, v17, -v2
	v_add_f32_e32 v2, v4, v18
	v_fma_f32 v4, -0.5, v3, v4
	v_sub_f32_e32 v3, v19, v9
	v_mov_b32_e32 v8, v4
	v_fmac_f32_e32 v8, 0xbf5db3d7, v3
	v_fmac_f32_e32 v4, 0x3f5db3d7, v3
	v_add_f32_e32 v3, v5, v19
	v_mul_f32_e32 v22, v35, v11
	v_add_f32_e32 v3, v3, v9
	v_add_f32_e32 v9, v19, v9
	v_fmac_f32_e32 v21, v32, v12
	v_fmac_f32_e32 v22, v34, v10
	v_fma_f32 v5, -0.5, v9, v5
	v_sub_f32_e32 v10, v18, v20
	v_mov_b32_e32 v9, v5
	v_add_f32_e32 v11, v21, v22
	v_fmac_f32_e32 v9, 0x3f5db3d7, v10
	v_fmac_f32_e32 v5, 0xbf5db3d7, v10
	v_add_f32_e32 v10, v6, v21
	v_fma_f32 v6, -0.5, v11, v6
	v_sub_f32_e32 v11, v13, v23
	v_mov_b32_e32 v12, v6
	v_mul_f32_e32 v24, v37, v15
	v_fmac_f32_e32 v12, 0xbf5db3d7, v11
	v_fmac_f32_e32 v6, 0x3f5db3d7, v11
	v_add_f32_e32 v11, v7, v13
	v_add_f32_e32 v13, v13, v23
	v_fmac_f32_e32 v24, v36, v14
	v_fmac_f32_e32 v26, v38, v16
	v_fmac_f32_e32 v7, -0.5, v13
	v_sub_f32_e32 v14, v21, v22
	v_mov_b32_e32 v13, v7
	v_add_f32_e32 v15, v24, v26
	v_fmac_f32_e32 v13, 0x3f5db3d7, v14
	v_fmac_f32_e32 v7, 0xbf5db3d7, v14
	v_add_f32_e32 v14, v0, v24
	v_fma_f32 v0, -0.5, v15, v0
	v_sub_f32_e32 v15, v25, v17
	v_mov_b32_e32 v16, v0
	v_fmac_f32_e32 v16, 0xbf5db3d7, v15
	v_fmac_f32_e32 v0, 0x3f5db3d7, v15
	v_add_f32_e32 v15, v1, v25
	v_add_f32_e32 v15, v15, v17
	;; [unrolled: 1-line block ×3, first 2 shown]
	v_fmac_f32_e32 v1, -0.5, v17
	v_sub_f32_e32 v18, v24, v26
	v_add_f32_e32 v2, v2, v20
	v_mov_b32_e32 v17, v1
	v_fmac_f32_e32 v1, 0xbf5db3d7, v18
	v_add_f32_e32 v10, v10, v22
	v_add_f32_e32 v11, v11, v23
	;; [unrolled: 1-line block ×3, first 2 shown]
	v_fmac_f32_e32 v17, 0x3f5db3d7, v18
	ds_write_b64 v79, v[2:3]
	ds_write2_b64 v83, v[8:9], v[4:5] offset0:63 offset1:126
	ds_write_b64 v83, v[10:11] offset:168
	ds_write2_b64 v45, v[12:13], v[6:7] offset0:63 offset1:126
	ds_write_b64 v83, v[14:15] offset:336
	ds_write2_b64 v44, v[16:17], v[0:1] offset0:63 offset1:126
	s_waitcnt lgkmcnt(0)
	; wave barrier
	s_waitcnt lgkmcnt(0)
	ds_read2_b64 v[0:3], v79 offset1:27
	s_mov_b32 s2, 0x6b015ac0
	s_mov_b32 s3, 0x3f75ac05
	v_mad_u64_u32 v[50:51], s[0:1], s10, v62, 0
	s_waitcnt lgkmcnt(0)
	v_mul_f32_e32 v5, v74, v1
	v_fmac_f32_e32 v5, v73, v0
	v_cvt_f64_f32_e32 v[5:6], v5
	v_mul_f32_e32 v0, v74, v0
	v_fma_f32 v0, v73, v1, -v0
	v_cvt_f64_f32_e32 v[0:1], v0
	v_mul_f64 v[5:6], v[5:6], s[2:3]
	v_mad_u64_u32 v[7:8], s[0:1], s8, v81, 0
	v_mov_b32_e32 v4, v51
	v_mul_f64 v[0:1], v[0:1], s[2:3]
	v_mad_u64_u32 v[9:10], s[0:1], s11, v62, v[4:5]
	v_mov_b32_e32 v4, v8
	v_mad_u64_u32 v[10:11], s[0:1], s9, v81, v[4:5]
	v_mov_b32_e32 v51, v9
	v_mul_f32_e32 v9, v72, v3
	v_fmac_f32_e32 v9, v71, v2
	v_mul_f32_e32 v2, v72, v2
	v_fma_f32 v2, v71, v3, -v2
	v_cvt_f32_f64_e32 v4, v[5:6]
	v_cvt_f32_f64_e32 v5, v[0:1]
	v_mov_b32_e32 v8, v10
	v_lshlrev_b64 v[0:1], 3, v[50:51]
	v_cvt_f64_f32_e32 v[9:10], v9
	v_cvt_f64_f32_e32 v[11:12], v2
	v_mov_b32_e32 v6, s7
	v_add_co_u32_e64 v2, s[0:1], s6, v0
	v_addc_co_u32_e64 v3, s[0:1], v6, v1, s[0:1]
	v_lshlrev_b64 v[6:7], 3, v[7:8]
	v_mul_f64 v[0:1], v[9:10], s[2:3]
	v_mul_f64 v[8:9], v[11:12], s[2:3]
	v_add_co_u32_e64 v10, s[0:1], v2, v6
	v_addc_co_u32_e64 v11, s[0:1], v3, v7, s[0:1]
	global_store_dwordx2 v[10:11], v[4:5], off
	ds_read2_b64 v[4:7], v79 offset0:54 offset1:81
	v_cvt_f32_f64_e32 v0, v[0:1]
	v_cvt_f32_f64_e32 v1, v[8:9]
	s_mul_i32 s0, s9, 27
	s_mul_hi_u32 s1, s8, 27
	s_waitcnt lgkmcnt(0)
	v_mul_f32_e32 v8, v70, v5
	v_fmac_f32_e32 v8, v69, v4
	v_mul_f32_e32 v4, v70, v4
	v_fma_f32 v4, v69, v5, -v4
	v_cvt_f64_f32_e32 v[4:5], v4
	v_cvt_f64_f32_e32 v[8:9], v8
	s_add_i32 s1, s1, s0
	s_mul_i32 s0, s8, 27
	v_mul_f64 v[4:5], v[4:5], s[2:3]
	v_mul_f64 v[8:9], v[8:9], s[2:3]
	s_lshl_b64 s[4:5], s[0:1], 3
	v_mov_b32_e32 v16, s5
	v_add_co_u32_e64 v10, s[0:1], s4, v10
	v_addc_co_u32_e64 v11, s[0:1], v11, v16, s[0:1]
	global_store_dwordx2 v[10:11], v[0:1], off
	v_cvt_f32_f64_e32 v1, v[4:5]
	v_mul_f32_e32 v4, v68, v7
	v_fmac_f32_e32 v4, v67, v6
	v_cvt_f32_f64_e32 v0, v[8:9]
	v_cvt_f64_f32_e32 v[8:9], v4
	v_mul_f32_e32 v4, v68, v6
	v_fma_f32 v4, v67, v7, -v4
	v_cvt_f64_f32_e32 v[12:13], v4
	ds_read2_b64 v[4:7], v79 offset0:108 offset1:135
	v_mul_f64 v[8:9], v[8:9], s[2:3]
	v_add_co_u32_e64 v10, s[0:1], s4, v10
	v_mul_f64 v[12:13], v[12:13], s[2:3]
	s_waitcnt lgkmcnt(0)
	v_mul_f32_e32 v14, v66, v5
	v_fmac_f32_e32 v14, v65, v4
	v_mul_f32_e32 v4, v66, v4
	v_fma_f32 v4, v65, v5, -v4
	v_cvt_f64_f32_e32 v[4:5], v4
	v_cvt_f64_f32_e32 v[14:15], v14
	v_addc_co_u32_e64 v11, s[0:1], v11, v16, s[0:1]
	v_mul_f64 v[4:5], v[4:5], s[2:3]
	global_store_dwordx2 v[10:11], v[0:1], off
	v_cvt_f32_f64_e32 v0, v[8:9]
	v_mul_f64 v[8:9], v[14:15], s[2:3]
	v_cvt_f32_f64_e32 v1, v[12:13]
	v_add_co_u32_e64 v10, s[0:1], s4, v10
	v_addc_co_u32_e64 v11, s[0:1], v11, v16, s[0:1]
	global_store_dwordx2 v[10:11], v[0:1], off
	v_cvt_f32_f64_e32 v1, v[4:5]
	v_mul_f32_e32 v4, v64, v7
	v_fmac_f32_e32 v4, v63, v6
	v_cvt_f32_f64_e32 v0, v[8:9]
	v_cvt_f64_f32_e32 v[4:5], v4
	ds_read_b64 v[8:9], v79 offset:1296
	v_mul_f32_e32 v6, v64, v6
	v_fma_f32 v6, v63, v7, -v6
	v_mul_f64 v[4:5], v[4:5], s[2:3]
	v_cvt_f64_f32_e32 v[6:7], v6
	s_waitcnt lgkmcnt(0)
	v_mul_f32_e32 v12, v61, v9
	v_fmac_f32_e32 v12, v60, v8
	v_mul_f32_e32 v8, v61, v8
	v_fma_f32 v8, v60, v9, -v8
	v_cvt_f64_f32_e32 v[12:13], v12
	v_cvt_f64_f32_e32 v[8:9], v8
	v_add_co_u32_e64 v10, s[0:1], s4, v10
	v_mul_f64 v[6:7], v[6:7], s[2:3]
	v_addc_co_u32_e64 v11, s[0:1], v11, v16, s[0:1]
	global_store_dwordx2 v[10:11], v[0:1], off
	v_cvt_f32_f64_e32 v0, v[4:5]
	v_mul_f64 v[4:5], v[12:13], s[2:3]
	v_mul_f64 v[8:9], v[8:9], s[2:3]
	v_cvt_f32_f64_e32 v1, v[6:7]
	v_add_co_u32_e64 v6, s[0:1], s4, v10
	v_addc_co_u32_e64 v7, s[0:1], v11, v16, s[0:1]
	v_cvt_f32_f64_e32 v4, v[4:5]
	v_cvt_f32_f64_e32 v5, v[8:9]
	global_store_dwordx2 v[6:7], v[0:1], off
	v_add_co_u32_e64 v0, s[0:1], s4, v6
	v_addc_co_u32_e64 v1, s[0:1], v7, v16, s[0:1]
	global_store_dwordx2 v[0:1], v[4:5], off
	s_and_b64 exec, exec, vcc
	s_cbranch_execz .LBB0_15
; %bb.14:
	global_load_dwordx2 v[16:17], v[58:59], off offset:168
	global_load_dwordx2 v[18:19], v[58:59], off offset:384
	;; [unrolled: 1-line block ×6, first 2 shown]
	v_mov_b32_e32 v12, 0xfffffb98
	v_mad_u64_u32 v[30:31], s[0:1], s8, v80, 0
	v_mad_u64_u32 v[0:1], s[0:1], s8, v12, v[0:1]
	s_mul_i32 s6, s9, 0xfffffb98
	v_mov_b32_e32 v13, 0x1b0
	s_sub_i32 s0, s6, s8
	v_mov_b32_e32 v12, v31
	v_add_u32_e32 v1, s0, v1
	v_mad_u64_u32 v[31:32], s[0:1], s9, v80, v[12:13]
	v_mad_u64_u32 v[32:33], s[0:1], s8, v13, v[0:1]
	ds_read_b64 v[28:29], v83 offset:168
	ds_read2_b64 v[4:7], v79 offset0:48 offset1:75
	s_mul_i32 s7, s9, 0x1b0
	ds_read2_b64 v[8:11], v79 offset0:102 offset1:129
	v_mov_b32_e32 v36, s5
	ds_read2_b64 v[12:15], v79 offset0:156 offset1:183
	v_lshlrev_b64 v[30:31], 3, v[30:31]
	v_add_u32_e32 v33, s7, v33
	v_add_co_u32_e32 v34, vcc, s4, v32
	v_addc_co_u32_e32 v35, vcc, v33, v36, vcc
	v_add_co_u32_e32 v2, vcc, v2, v30
	v_addc_co_u32_e32 v3, vcc, v3, v31, vcc
	s_waitcnt vmcnt(5) lgkmcnt(3)
	v_mul_f32_e32 v30, v29, v17
	v_mul_f32_e32 v17, v28, v17
	s_waitcnt vmcnt(4) lgkmcnt(2)
	v_mul_f32_e32 v31, v5, v19
	v_mul_f32_e32 v19, v4, v19
	s_waitcnt vmcnt(3)
	v_mul_f32_e32 v37, v7, v21
	v_mul_f32_e32 v21, v6, v21
	v_fmac_f32_e32 v30, v28, v16
	v_fma_f32 v16, v16, v29, -v17
	s_waitcnt vmcnt(2) lgkmcnt(1)
	v_mul_f32_e32 v38, v9, v23
	v_mul_f32_e32 v23, v8, v23
	s_waitcnt vmcnt(1)
	v_mul_f32_e32 v39, v11, v25
	v_mul_f32_e32 v25, v10, v25
	v_fmac_f32_e32 v31, v4, v18
	v_fma_f32 v17, v18, v5, -v19
	v_fmac_f32_e32 v37, v6, v20
	v_fma_f32 v18, v20, v7, -v21
	v_cvt_f64_f32_e32 v[4:5], v30
	v_cvt_f64_f32_e32 v[6:7], v16
	s_waitcnt vmcnt(0) lgkmcnt(0)
	v_mul_f32_e32 v40, v13, v27
	v_mul_f32_e32 v27, v12, v27
	v_fmac_f32_e32 v38, v8, v22
	v_fma_f32 v20, v22, v9, -v23
	v_fmac_f32_e32 v39, v10, v24
	v_fma_f32 v24, v24, v11, -v25
	v_cvt_f64_f32_e32 v[8:9], v31
	v_cvt_f64_f32_e32 v[10:11], v17
	v_fmac_f32_e32 v40, v12, v26
	v_fma_f32 v28, v26, v13, -v27
	v_cvt_f64_f32_e32 v[12:13], v37
	v_cvt_f64_f32_e32 v[16:17], v18
	;; [unrolled: 1-line block ×8, first 2 shown]
	v_mul_f64 v[4:5], v[4:5], s[2:3]
	v_mul_f64 v[6:7], v[6:7], s[2:3]
	;; [unrolled: 1-line block ×12, first 2 shown]
	v_cvt_f32_f64_e32 v4, v[4:5]
	v_cvt_f32_f64_e32 v5, v[6:7]
	v_cvt_f32_f64_e32 v6, v[8:9]
	v_cvt_f32_f64_e32 v7, v[10:11]
	v_cvt_f32_f64_e32 v8, v[12:13]
	v_cvt_f32_f64_e32 v9, v[16:17]
	v_cvt_f32_f64_e32 v12, v[22:23]
	v_cvt_f32_f64_e32 v13, v[24:25]
	v_cvt_f32_f64_e32 v10, v[18:19]
	v_cvt_f32_f64_e32 v11, v[20:21]
	global_store_dwordx2 v[0:1], v[4:5], off
	global_store_dwordx2 v[2:3], v[6:7], off
	;; [unrolled: 1-line block ×4, first 2 shown]
	v_add_co_u32_e32 v0, vcc, s4, v34
	v_cvt_f32_f64_e32 v2, v[26:27]
	v_cvt_f32_f64_e32 v3, v[28:29]
	v_addc_co_u32_e32 v1, vcc, v35, v36, vcc
	global_store_dwordx2 v[0:1], v[12:13], off
	v_add_co_u32_e32 v0, vcc, s4, v0
	v_addc_co_u32_e32 v1, vcc, v1, v36, vcc
	global_store_dwordx2 v[0:1], v[2:3], off
	global_load_dwordx2 v[2:3], v[58:59], off offset:1464
	v_add_co_u32_e32 v0, vcc, s4, v0
	v_addc_co_u32_e32 v1, vcc, v1, v36, vcc
	s_waitcnt vmcnt(0)
	v_mul_f32_e32 v4, v15, v3
	v_mul_f32_e32 v3, v14, v3
	v_fmac_f32_e32 v4, v14, v2
	v_fma_f32 v5, v2, v15, -v3
	v_cvt_f64_f32_e32 v[2:3], v4
	v_cvt_f64_f32_e32 v[4:5], v5
	v_mul_f64 v[2:3], v[2:3], s[2:3]
	v_mul_f64 v[4:5], v[4:5], s[2:3]
	v_cvt_f32_f64_e32 v2, v[2:3]
	v_cvt_f32_f64_e32 v3, v[4:5]
	global_store_dwordx2 v[0:1], v[2:3], off
.LBB0_15:
	s_endpgm
	.section	.rodata,"a",@progbits
	.p2align	6, 0x0
	.amdhsa_kernel bluestein_single_back_len189_dim1_sp_op_CI_CI
		.amdhsa_group_segment_fixed_size 4536
		.amdhsa_private_segment_fixed_size 0
		.amdhsa_kernarg_size 104
		.amdhsa_user_sgpr_count 6
		.amdhsa_user_sgpr_private_segment_buffer 1
		.amdhsa_user_sgpr_dispatch_ptr 0
		.amdhsa_user_sgpr_queue_ptr 0
		.amdhsa_user_sgpr_kernarg_segment_ptr 1
		.amdhsa_user_sgpr_dispatch_id 0
		.amdhsa_user_sgpr_flat_scratch_init 0
		.amdhsa_user_sgpr_private_segment_size 0
		.amdhsa_uses_dynamic_stack 0
		.amdhsa_system_sgpr_private_segment_wavefront_offset 0
		.amdhsa_system_sgpr_workgroup_id_x 1
		.amdhsa_system_sgpr_workgroup_id_y 0
		.amdhsa_system_sgpr_workgroup_id_z 0
		.amdhsa_system_sgpr_workgroup_info 0
		.amdhsa_system_vgpr_workitem_id 0
		.amdhsa_next_free_vgpr 110
		.amdhsa_next_free_sgpr 19
		.amdhsa_reserve_vcc 1
		.amdhsa_reserve_flat_scratch 0
		.amdhsa_float_round_mode_32 0
		.amdhsa_float_round_mode_16_64 0
		.amdhsa_float_denorm_mode_32 3
		.amdhsa_float_denorm_mode_16_64 3
		.amdhsa_dx10_clamp 1
		.amdhsa_ieee_mode 1
		.amdhsa_fp16_overflow 0
		.amdhsa_exception_fp_ieee_invalid_op 0
		.amdhsa_exception_fp_denorm_src 0
		.amdhsa_exception_fp_ieee_div_zero 0
		.amdhsa_exception_fp_ieee_overflow 0
		.amdhsa_exception_fp_ieee_underflow 0
		.amdhsa_exception_fp_ieee_inexact 0
		.amdhsa_exception_int_div_zero 0
	.end_amdhsa_kernel
	.text
.Lfunc_end0:
	.size	bluestein_single_back_len189_dim1_sp_op_CI_CI, .Lfunc_end0-bluestein_single_back_len189_dim1_sp_op_CI_CI
                                        ; -- End function
	.section	.AMDGPU.csdata,"",@progbits
; Kernel info:
; codeLenInByte = 8800
; NumSgprs: 23
; NumVgprs: 110
; ScratchSize: 0
; MemoryBound: 0
; FloatMode: 240
; IeeeMode: 1
; LDSByteSize: 4536 bytes/workgroup (compile time only)
; SGPRBlocks: 2
; VGPRBlocks: 27
; NumSGPRsForWavesPerEU: 23
; NumVGPRsForWavesPerEU: 110
; Occupancy: 2
; WaveLimiterHint : 1
; COMPUTE_PGM_RSRC2:SCRATCH_EN: 0
; COMPUTE_PGM_RSRC2:USER_SGPR: 6
; COMPUTE_PGM_RSRC2:TRAP_HANDLER: 0
; COMPUTE_PGM_RSRC2:TGID_X_EN: 1
; COMPUTE_PGM_RSRC2:TGID_Y_EN: 0
; COMPUTE_PGM_RSRC2:TGID_Z_EN: 0
; COMPUTE_PGM_RSRC2:TIDIG_COMP_CNT: 0
	.type	__hip_cuid_13d35822c162692e,@object ; @__hip_cuid_13d35822c162692e
	.section	.bss,"aw",@nobits
	.globl	__hip_cuid_13d35822c162692e
__hip_cuid_13d35822c162692e:
	.byte	0                               ; 0x0
	.size	__hip_cuid_13d35822c162692e, 1

	.ident	"AMD clang version 19.0.0git (https://github.com/RadeonOpenCompute/llvm-project roc-6.4.0 25133 c7fe45cf4b819c5991fe208aaa96edf142730f1d)"
	.section	".note.GNU-stack","",@progbits
	.addrsig
	.addrsig_sym __hip_cuid_13d35822c162692e
	.amdgpu_metadata
---
amdhsa.kernels:
  - .args:
      - .actual_access:  read_only
        .address_space:  global
        .offset:         0
        .size:           8
        .value_kind:     global_buffer
      - .actual_access:  read_only
        .address_space:  global
        .offset:         8
        .size:           8
        .value_kind:     global_buffer
      - .actual_access:  read_only
        .address_space:  global
        .offset:         16
        .size:           8
        .value_kind:     global_buffer
      - .actual_access:  read_only
        .address_space:  global
        .offset:         24
        .size:           8
        .value_kind:     global_buffer
      - .actual_access:  read_only
        .address_space:  global
        .offset:         32
        .size:           8
        .value_kind:     global_buffer
      - .offset:         40
        .size:           8
        .value_kind:     by_value
      - .address_space:  global
        .offset:         48
        .size:           8
        .value_kind:     global_buffer
      - .address_space:  global
        .offset:         56
        .size:           8
        .value_kind:     global_buffer
      - .address_space:  global
        .offset:         64
        .size:           8
        .value_kind:     global_buffer
      - .address_space:  global
        .offset:         72
        .size:           8
        .value_kind:     global_buffer
      - .offset:         80
        .size:           4
        .value_kind:     by_value
      - .address_space:  global
        .offset:         88
        .size:           8
        .value_kind:     global_buffer
      - .address_space:  global
        .offset:         96
        .size:           8
        .value_kind:     global_buffer
    .group_segment_fixed_size: 4536
    .kernarg_segment_align: 8
    .kernarg_segment_size: 104
    .language:       OpenCL C
    .language_version:
      - 2
      - 0
    .max_flat_workgroup_size: 63
    .name:           bluestein_single_back_len189_dim1_sp_op_CI_CI
    .private_segment_fixed_size: 0
    .sgpr_count:     23
    .sgpr_spill_count: 0
    .symbol:         bluestein_single_back_len189_dim1_sp_op_CI_CI.kd
    .uniform_work_group_size: 1
    .uses_dynamic_stack: false
    .vgpr_count:     110
    .vgpr_spill_count: 0
    .wavefront_size: 64
amdhsa.target:   amdgcn-amd-amdhsa--gfx906
amdhsa.version:
  - 1
  - 2
...

	.end_amdgpu_metadata
